;; amdgpu-corpus repo=ROCm/rocFFT kind=compiled arch=gfx1030 opt=O3
	.text
	.amdgcn_target "amdgcn-amd-amdhsa--gfx1030"
	.amdhsa_code_object_version 6
	.protected	fft_rtc_back_len1540_factors_11_2_7_5_2_wgs_154_tpt_154_halfLds_half_ip_CI_unitstride_sbrr_dirReg ; -- Begin function fft_rtc_back_len1540_factors_11_2_7_5_2_wgs_154_tpt_154_halfLds_half_ip_CI_unitstride_sbrr_dirReg
	.globl	fft_rtc_back_len1540_factors_11_2_7_5_2_wgs_154_tpt_154_halfLds_half_ip_CI_unitstride_sbrr_dirReg
	.p2align	8
	.type	fft_rtc_back_len1540_factors_11_2_7_5_2_wgs_154_tpt_154_halfLds_half_ip_CI_unitstride_sbrr_dirReg,@function
fft_rtc_back_len1540_factors_11_2_7_5_2_wgs_154_tpt_154_halfLds_half_ip_CI_unitstride_sbrr_dirReg: ; @fft_rtc_back_len1540_factors_11_2_7_5_2_wgs_154_tpt_154_halfLds_half_ip_CI_unitstride_sbrr_dirReg
; %bb.0:
	s_clause 0x2
	s_load_dwordx4 s[8:11], s[4:5], 0x0
	s_load_dwordx2 s[2:3], s[4:5], 0x50
	s_load_dwordx2 s[12:13], s[4:5], 0x18
	v_mul_u32_u24_e32 v1, 0x1aa, v0
	v_mov_b32_e32 v3, 0
	v_add_nc_u32_sdwa v5, s6, v1 dst_sel:DWORD dst_unused:UNUSED_PAD src0_sel:DWORD src1_sel:WORD_1
	v_mov_b32_e32 v1, 0
	v_mov_b32_e32 v6, v3
	v_mov_b32_e32 v2, 0
	s_waitcnt lgkmcnt(0)
	v_cmp_lt_u64_e64 s0, s[10:11], 2
	s_and_b32 vcc_lo, exec_lo, s0
	s_cbranch_vccnz .LBB0_8
; %bb.1:
	s_load_dwordx2 s[0:1], s[4:5], 0x10
	v_mov_b32_e32 v1, 0
	s_add_u32 s6, s12, 8
	v_mov_b32_e32 v2, 0
	s_addc_u32 s7, s13, 0
	s_mov_b64 s[16:17], 1
	s_waitcnt lgkmcnt(0)
	s_add_u32 s14, s0, 8
	s_addc_u32 s15, s1, 0
.LBB0_2:                                ; =>This Inner Loop Header: Depth=1
	s_load_dwordx2 s[18:19], s[14:15], 0x0
                                        ; implicit-def: $vgpr7_vgpr8
	s_mov_b32 s0, exec_lo
	s_waitcnt lgkmcnt(0)
	v_or_b32_e32 v4, s19, v6
	v_cmpx_ne_u64_e32 0, v[3:4]
	s_xor_b32 s1, exec_lo, s0
	s_cbranch_execz .LBB0_4
; %bb.3:                                ;   in Loop: Header=BB0_2 Depth=1
	v_cvt_f32_u32_e32 v4, s18
	v_cvt_f32_u32_e32 v7, s19
	s_sub_u32 s0, 0, s18
	s_subb_u32 s20, 0, s19
	v_fmac_f32_e32 v4, 0x4f800000, v7
	v_rcp_f32_e32 v4, v4
	v_mul_f32_e32 v4, 0x5f7ffffc, v4
	v_mul_f32_e32 v7, 0x2f800000, v4
	v_trunc_f32_e32 v7, v7
	v_fmac_f32_e32 v4, 0xcf800000, v7
	v_cvt_u32_f32_e32 v7, v7
	v_cvt_u32_f32_e32 v4, v4
	v_mul_lo_u32 v8, s0, v7
	v_mul_hi_u32 v9, s0, v4
	v_mul_lo_u32 v10, s20, v4
	v_add_nc_u32_e32 v8, v9, v8
	v_mul_lo_u32 v9, s0, v4
	v_add_nc_u32_e32 v8, v8, v10
	v_mul_hi_u32 v10, v4, v9
	v_mul_lo_u32 v11, v4, v8
	v_mul_hi_u32 v12, v4, v8
	v_mul_hi_u32 v13, v7, v9
	v_mul_lo_u32 v9, v7, v9
	v_mul_hi_u32 v14, v7, v8
	v_mul_lo_u32 v8, v7, v8
	v_add_co_u32 v10, vcc_lo, v10, v11
	v_add_co_ci_u32_e32 v11, vcc_lo, 0, v12, vcc_lo
	v_add_co_u32 v9, vcc_lo, v10, v9
	v_add_co_ci_u32_e32 v9, vcc_lo, v11, v13, vcc_lo
	v_add_co_ci_u32_e32 v10, vcc_lo, 0, v14, vcc_lo
	v_add_co_u32 v8, vcc_lo, v9, v8
	v_add_co_ci_u32_e32 v9, vcc_lo, 0, v10, vcc_lo
	v_add_co_u32 v4, vcc_lo, v4, v8
	v_add_co_ci_u32_e32 v7, vcc_lo, v7, v9, vcc_lo
	v_mul_hi_u32 v8, s0, v4
	v_mul_lo_u32 v10, s20, v4
	v_mul_lo_u32 v9, s0, v7
	v_add_nc_u32_e32 v8, v8, v9
	v_mul_lo_u32 v9, s0, v4
	v_add_nc_u32_e32 v8, v8, v10
	v_mul_hi_u32 v10, v4, v9
	v_mul_lo_u32 v11, v4, v8
	v_mul_hi_u32 v12, v4, v8
	v_mul_hi_u32 v13, v7, v9
	v_mul_lo_u32 v9, v7, v9
	v_mul_hi_u32 v14, v7, v8
	v_mul_lo_u32 v8, v7, v8
	v_add_co_u32 v10, vcc_lo, v10, v11
	v_add_co_ci_u32_e32 v11, vcc_lo, 0, v12, vcc_lo
	v_add_co_u32 v9, vcc_lo, v10, v9
	v_add_co_ci_u32_e32 v9, vcc_lo, v11, v13, vcc_lo
	v_add_co_ci_u32_e32 v10, vcc_lo, 0, v14, vcc_lo
	v_add_co_u32 v8, vcc_lo, v9, v8
	v_add_co_ci_u32_e32 v9, vcc_lo, 0, v10, vcc_lo
	v_add_co_u32 v4, vcc_lo, v4, v8
	v_add_co_ci_u32_e32 v11, vcc_lo, v7, v9, vcc_lo
	v_mul_hi_u32 v13, v5, v4
	v_mad_u64_u32 v[9:10], null, v6, v4, 0
	v_mad_u64_u32 v[7:8], null, v5, v11, 0
	;; [unrolled: 1-line block ×3, first 2 shown]
	v_add_co_u32 v4, vcc_lo, v13, v7
	v_add_co_ci_u32_e32 v7, vcc_lo, 0, v8, vcc_lo
	v_add_co_u32 v4, vcc_lo, v4, v9
	v_add_co_ci_u32_e32 v4, vcc_lo, v7, v10, vcc_lo
	v_add_co_ci_u32_e32 v7, vcc_lo, 0, v12, vcc_lo
	v_add_co_u32 v4, vcc_lo, v4, v11
	v_add_co_ci_u32_e32 v9, vcc_lo, 0, v7, vcc_lo
	v_mul_lo_u32 v10, s19, v4
	v_mad_u64_u32 v[7:8], null, s18, v4, 0
	v_mul_lo_u32 v11, s18, v9
	v_sub_co_u32 v7, vcc_lo, v5, v7
	v_add3_u32 v8, v8, v11, v10
	v_sub_nc_u32_e32 v10, v6, v8
	v_subrev_co_ci_u32_e64 v10, s0, s19, v10, vcc_lo
	v_add_co_u32 v11, s0, v4, 2
	v_add_co_ci_u32_e64 v12, s0, 0, v9, s0
	v_sub_co_u32 v13, s0, v7, s18
	v_sub_co_ci_u32_e32 v8, vcc_lo, v6, v8, vcc_lo
	v_subrev_co_ci_u32_e64 v10, s0, 0, v10, s0
	v_cmp_le_u32_e32 vcc_lo, s18, v13
	v_cmp_eq_u32_e64 s0, s19, v8
	v_cndmask_b32_e64 v13, 0, -1, vcc_lo
	v_cmp_le_u32_e32 vcc_lo, s19, v10
	v_cndmask_b32_e64 v14, 0, -1, vcc_lo
	v_cmp_le_u32_e32 vcc_lo, s18, v7
	;; [unrolled: 2-line block ×3, first 2 shown]
	v_cndmask_b32_e64 v15, 0, -1, vcc_lo
	v_cmp_eq_u32_e32 vcc_lo, s19, v10
	v_cndmask_b32_e64 v7, v15, v7, s0
	v_cndmask_b32_e32 v10, v14, v13, vcc_lo
	v_add_co_u32 v13, vcc_lo, v4, 1
	v_add_co_ci_u32_e32 v14, vcc_lo, 0, v9, vcc_lo
	v_cmp_ne_u32_e32 vcc_lo, 0, v10
	v_cndmask_b32_e32 v8, v14, v12, vcc_lo
	v_cndmask_b32_e32 v10, v13, v11, vcc_lo
	v_cmp_ne_u32_e32 vcc_lo, 0, v7
	v_cndmask_b32_e32 v8, v9, v8, vcc_lo
	v_cndmask_b32_e32 v7, v4, v10, vcc_lo
.LBB0_4:                                ;   in Loop: Header=BB0_2 Depth=1
	s_andn2_saveexec_b32 s0, s1
	s_cbranch_execz .LBB0_6
; %bb.5:                                ;   in Loop: Header=BB0_2 Depth=1
	v_cvt_f32_u32_e32 v4, s18
	s_sub_i32 s1, 0, s18
	v_rcp_iflag_f32_e32 v4, v4
	v_mul_f32_e32 v4, 0x4f7ffffe, v4
	v_cvt_u32_f32_e32 v4, v4
	v_mul_lo_u32 v7, s1, v4
	v_mul_hi_u32 v7, v4, v7
	v_add_nc_u32_e32 v4, v4, v7
	v_mul_hi_u32 v4, v5, v4
	v_mul_lo_u32 v7, v4, s18
	v_add_nc_u32_e32 v8, 1, v4
	v_sub_nc_u32_e32 v7, v5, v7
	v_subrev_nc_u32_e32 v9, s18, v7
	v_cmp_le_u32_e32 vcc_lo, s18, v7
	v_cndmask_b32_e32 v7, v7, v9, vcc_lo
	v_cndmask_b32_e32 v4, v4, v8, vcc_lo
	v_cmp_le_u32_e32 vcc_lo, s18, v7
	v_add_nc_u32_e32 v8, 1, v4
	v_cndmask_b32_e32 v7, v4, v8, vcc_lo
	v_mov_b32_e32 v8, v3
.LBB0_6:                                ;   in Loop: Header=BB0_2 Depth=1
	s_or_b32 exec_lo, exec_lo, s0
	s_load_dwordx2 s[0:1], s[6:7], 0x0
	v_mul_lo_u32 v4, v8, s18
	v_mul_lo_u32 v11, v7, s19
	v_mad_u64_u32 v[9:10], null, v7, s18, 0
	s_add_u32 s16, s16, 1
	s_addc_u32 s17, s17, 0
	s_add_u32 s6, s6, 8
	s_addc_u32 s7, s7, 0
	;; [unrolled: 2-line block ×3, first 2 shown]
	v_add3_u32 v4, v10, v11, v4
	v_sub_co_u32 v5, vcc_lo, v5, v9
	v_sub_co_ci_u32_e32 v4, vcc_lo, v6, v4, vcc_lo
	s_waitcnt lgkmcnt(0)
	v_mul_lo_u32 v6, s1, v5
	v_mul_lo_u32 v4, s0, v4
	v_mad_u64_u32 v[1:2], null, s0, v5, v[1:2]
	v_cmp_ge_u64_e64 s0, s[16:17], s[10:11]
	s_and_b32 vcc_lo, exec_lo, s0
	v_add3_u32 v2, v6, v2, v4
	s_cbranch_vccnz .LBB0_9
; %bb.7:                                ;   in Loop: Header=BB0_2 Depth=1
	v_mov_b32_e32 v5, v7
	v_mov_b32_e32 v6, v8
	s_branch .LBB0_2
.LBB0_8:
	v_mov_b32_e32 v8, v6
	v_mov_b32_e32 v7, v5
.LBB0_9:
	s_lshl_b64 s[0:1], s[10:11], 3
	v_mul_hi_u32 v3, 0x1a98ef7, v0
	s_add_u32 s0, s12, s0
	s_addc_u32 s1, s13, s1
	v_mov_b32_e32 v20, 0
	s_load_dwordx2 s[0:1], s[0:1], 0x0
	s_load_dwordx2 s[4:5], s[4:5], 0x20
                                        ; implicit-def: $vgpr26
                                        ; implicit-def: $vgpr14
                                        ; implicit-def: $vgpr25
                                        ; implicit-def: $vgpr15
                                        ; implicit-def: $vgpr24
                                        ; implicit-def: $vgpr13
                                        ; implicit-def: $vgpr23
                                        ; implicit-def: $vgpr17
                                        ; implicit-def: $vgpr16
                                        ; implicit-def: $vgpr12
                                        ; implicit-def: $vgpr11
                                        ; implicit-def: $vgpr10
                                        ; implicit-def: $vgpr18
                                        ; implicit-def: $vgpr19
                                        ; implicit-def: $vgpr21
	s_waitcnt lgkmcnt(0)
	v_mul_lo_u32 v4, s0, v8
	v_mul_lo_u32 v9, s1, v7
	v_mad_u64_u32 v[5:6], null, s0, v7, v[1:2]
	v_mul_u32_u24_e32 v1, 0x9a, v3
	v_cmp_gt_u64_e32 vcc_lo, s[4:5], v[7:8]
                                        ; implicit-def: $vgpr7
                                        ; implicit-def: $vgpr8
	v_sub_nc_u32_e32 v2, v0, v1
	v_add3_u32 v6, v9, v6, v4
	v_mov_b32_e32 v4, 0
                                        ; implicit-def: $vgpr9
	v_cmp_gt_u32_e64 s0, 0x8c, v2
	v_lshlrev_b64 v[0:1], 2, v[5:6]
                                        ; implicit-def: $vgpr5
                                        ; implicit-def: $vgpr6
	s_and_b32 s1, vcc_lo, s0
	s_and_saveexec_b32 s4, s1
	s_cbranch_execz .LBB0_11
; %bb.10:
	v_mov_b32_e32 v3, 0
	v_add_co_u32 v5, s1, s2, v0
	v_add_co_ci_u32_e64 v6, s1, s3, v1, s1
	v_lshlrev_b64 v[3:4], 2, v[2:3]
	v_add_co_u32 v3, s1, v5, v3
	v_add_co_ci_u32_e64 v4, s1, v6, v4, s1
	v_add_co_u32 v8, s1, 0x800, v3
	v_add_co_ci_u32_e64 v9, s1, 0, v4, s1
	;; [unrolled: 2-line block ×3, first 2 shown]
	s_clause 0xa
	global_load_dword v20, v[3:4], off
	global_load_dword v14, v[3:4], off offset:560
	global_load_dword v15, v[3:4], off offset:1120
	;; [unrolled: 1-line block ×10, first 2 shown]
	s_waitcnt vmcnt(10)
	v_lshrrev_b32_e32 v4, 16, v20
	s_waitcnt vmcnt(9)
	v_lshrrev_b32_e32 v26, 16, v14
	;; [unrolled: 2-line block ×11, first 2 shown]
.LBB0_11:
	s_or_b32 exec_lo, exec_lo, s4
	v_sub_f16_e32 v31, v26, v8
	v_add_f16_e32 v22, v14, v21
	v_sub_f16_e32 v33, v25, v9
	v_add_f16_e32 v27, v15, v19
	v_sub_f16_e32 v36, v24, v10
	v_mul_f16_e32 v32, 0xb853, v31
	v_add_f16_e32 v28, v13, v18
	v_mul_f16_e32 v34, 0xbb47, v33
	v_sub_f16_e32 v39, v23, v12
	v_mul_f16_e32 v38, 0xbbeb, v36
	v_fma_f16 v3, v22, 0x3abb, -v32
	v_add_f16_e32 v29, v5, v11
	v_fma_f16 v30, v27, 0x36a6, -v34
	v_mul_f16_e32 v35, 0xba0c, v39
	v_fma_f16 v37, v28, 0xb08e, -v38
	v_add_f16_e32 v3, v20, v3
	v_sub_f16_e32 v40, v17, v16
	v_fma_f16 v41, v29, 0xb93d, -v35
	v_add_f16_e32 v3, v30, v3
	v_add_f16_e32 v30, v6, v7
	;; [unrolled: 1-line block ×3, first 2 shown]
	v_mul_f16_e32 v37, 0xb482, v40
	v_add_f16_e32 v3, v41, v3
	v_fma_f16 v41, v30, 0xbbad, -v37
	v_add_f16_e32 v3, v41, v3
	s_and_saveexec_b32 s1, s0
	s_cbranch_execz .LBB0_13
; %bb.12:
	v_mul_f16_e32 v42, 0x3abb, v22
	v_add_f16_e32 v41, v20, v14
	v_mul_f16_e32 v43, 0x36a6, v27
	v_mul_f16_e32 v44, 0xb08e, v28
	;; [unrolled: 1-line block ×3, first 2 shown]
	v_add_f16_e32 v32, v32, v42
	v_add_f16_e32 v41, v41, v15
	;; [unrolled: 1-line block ×4, first 2 shown]
	v_mul_f16_e32 v46, 0xbbad, v30
	v_add_f16_e32 v32, v20, v32
	v_add_f16_e32 v41, v41, v13
	v_pk_mul_f16 v47, 0xb482ba0c, v31 op_sel_hi:[1,0]
	v_add_f16_e32 v35, v35, v45
	v_pk_mul_f16 v31, 0xbbebbb47, v31 op_sel_hi:[1,0]
	v_add_f16_e32 v32, v34, v32
	v_add_f16_e32 v41, v41, v5
	v_pk_mul_f16 v48, 0x38533beb, v33 op_sel_hi:[1,0]
	v_add_f16_e32 v37, v37, v46
	v_pk_mul_f16 v33, 0x3482ba0c, v33 op_sel_hi:[1,0]
	v_add_f16_e32 v32, v38, v32
	v_add_f16_e32 v41, v41, v6
	v_pk_fma_f16 v42, 0xb08e36a6, v22, v31 op_sel_hi:[1,0,1]
	v_pk_fma_f16 v31, 0xb08e36a6, v22, v31 op_sel_hi:[1,0,1] neg_lo:[0,0,1] neg_hi:[0,0,1]
	v_pk_mul_f16 v49, 0xba0cb853, v36 op_sel_hi:[1,0]
	v_add_f16_e32 v32, v35, v32
	v_pk_fma_f16 v35, 0xbbadb93d, v22, v47 op_sel_hi:[1,0,1] neg_lo:[0,0,1] neg_hi:[0,0,1]
	v_add_f16_e32 v41, v41, v7
	v_pk_fma_f16 v22, 0xbbadb93d, v22, v47 op_sel_hi:[1,0,1]
	v_pk_mul_f16 v36, 0x3b473482, v36 op_sel_hi:[1,0]
	v_add_f16_e32 v32, v37, v32
	v_pk_add_f16 v35, v20, v35 op_sel_hi:[0,1]
	v_pk_fma_f16 v37, 0x3abbb08e, v27, v48 op_sel_hi:[1,0,1] neg_lo:[0,0,1] neg_hi:[0,0,1]
	v_pk_fma_f16 v43, 0xbbadb93d, v27, v33 op_sel_hi:[1,0,1]
	v_pk_add_f16 v31, v20, v31 op_sel_hi:[0,1]
	v_pk_fma_f16 v33, 0xbbadb93d, v27, v33 op_sel_hi:[1,0,1] neg_lo:[0,0,1] neg_hi:[0,0,1]
	v_pk_mul_f16 v50, 0x3b47b482, v39 op_sel_hi:[1,0]
	v_pk_add_f16 v42, v20, v42 op_sel_hi:[0,1]
	v_add_f16_e32 v34, v41, v11
	v_pk_add_f16 v20, v20, v22 op_sel_hi:[0,1]
	v_pk_fma_f16 v22, 0x3abbb08e, v27, v48 op_sel_hi:[1,0,1]
	v_pk_add_f16 v27, v37, v35
	v_pk_fma_f16 v35, 0xb93d3abb, v28, v49 op_sel_hi:[1,0,1] neg_lo:[0,0,1] neg_hi:[0,0,1]
	v_pk_mul_f16 v39, 0xb8533beb, v39 op_sel_hi:[1,0]
	v_pk_add_f16 v31, v33, v31
	v_pk_fma_f16 v33, 0x36a6bbad, v28, v36 op_sel_hi:[1,0,1] neg_lo:[0,0,1] neg_hi:[0,0,1]
	v_pk_mul_f16 v51, 0xbbeb3b47, v40 op_sel_hi:[1,0]
	v_pk_fma_f16 v41, 0x36a6bbad, v28, v36 op_sel_hi:[1,0,1]
	v_pk_add_f16 v42, v43, v42
	v_add_f16_e32 v34, v34, v18
	v_pk_add_f16 v20, v22, v20
	v_pk_fma_f16 v22, 0xb93d3abb, v28, v49 op_sel_hi:[1,0,1]
	v_pk_add_f16 v27, v35, v27
	v_pk_fma_f16 v28, 0x36a6bbad, v29, v50 op_sel_hi:[1,0,1] neg_lo:[0,0,1] neg_hi:[0,0,1]
	v_pk_mul_f16 v40, 0xba0c3853, v40 op_sel_hi:[1,0]
	v_pk_add_f16 v31, v33, v31
	v_pk_fma_f16 v33, 0x3abbb08e, v29, v39 op_sel_hi:[1,0,1] neg_lo:[0,0,1] neg_hi:[0,0,1]
	v_pk_fma_f16 v38, 0x3abbb08e, v29, v39 op_sel_hi:[1,0,1]
	v_pk_add_f16 v41, v41, v42
	v_add_f16_e32 v34, v34, v19
	v_pk_add_f16 v20, v22, v20
	v_pk_fma_f16 v22, 0x36a6bbad, v29, v50 op_sel_hi:[1,0,1]
	v_pk_add_f16 v27, v28, v27
	v_pk_fma_f16 v28, 0xb08e36a6, v30, v51 op_sel_hi:[1,0,1] neg_lo:[0,0,1] neg_hi:[0,0,1]
	v_pk_add_f16 v29, v33, v31
	v_pk_fma_f16 v31, 0xb93d3abb, v30, v40 op_sel_hi:[1,0,1] neg_lo:[0,0,1] neg_hi:[0,0,1]
	v_pk_fma_f16 v43, 0xb93d3abb, v30, v40 op_sel_hi:[1,0,1]
	v_pk_add_f16 v38, v38, v41
	v_add_f16_e32 v34, v34, v21
	v_pk_add_f16 v20, v22, v20
	v_pk_fma_f16 v22, 0xb08e36a6, v30, v51 op_sel_hi:[1,0,1]
	v_pk_add_f16 v27, v28, v27
	v_pk_add_f16 v31, v31, v29
	v_mad_u32_u24 v33, v2, 22, 0
	v_pk_add_f16 v28, v43, v38
	v_pk_add_f16 v29, v22, v20
	v_alignbit_b32 v30, v27, v27, 16
	v_pack_b32_f16 v27, v34, v32
	v_alignbit_b32 v20, v31, v31, 16
	ds_write_b128 v33, v[27:30]
	ds_write_b32 v33, v20 offset:16
	ds_write_b16 v33, v3 offset:20
.LBB0_13:
	s_or_b32 exec_lo, exec_lo, s1
	v_add_f16_e32 v30, v26, v8
	v_sub_f16_e32 v39, v14, v21
	v_add_f16_e32 v29, v25, v9
	v_sub_f16_e32 v36, v15, v19
	v_sub_f16_e32 v41, v13, v18
	v_pk_mul_f16 v33, 0x36a63abb, v30 op_sel_hi:[1,0]
	v_pk_mul_f16 v34, 0xbb47b853, v39 op_sel_hi:[1,0]
	;; [unrolled: 1-line block ×4, first 2 shown]
	v_sub_f16_e32 v28, v6, v7
	v_lshl_add_u32 v7, v2, 1, 0
	v_add_f16_e32 v13, v33, v34
	v_add_f16_e32 v31, v24, v10
	;; [unrolled: 1-line block ×3, first 2 shown]
	v_sub_f16_e32 v43, v5, v11
	s_waitcnt lgkmcnt(0)
	v_add_f16_e32 v13, v4, v13
	s_barrier
	buffer_gl0_inv
	v_add_f16_e32 v32, v23, v12
	v_pk_mul_f16 v38, 0xbbadb08e, v31 op_sel_hi:[1,0]
	v_add_f16_e32 v44, v14, v13
	ds_read_u16 v6, v7 offset:1848
	ds_read_u16 v11, v7 offset:2156
	ds_read_u16 v18, v7
	ds_read_u16 v19, v7 offset:308
	ds_read_u16 v20, v7 offset:616
	;; [unrolled: 1-line block ×7, first 2 shown]
	v_pk_mul_f16 v40, 0x3482bbeb, v41 op_sel_hi:[1,0]
	v_add_f16_e32 v27, v17, v16
	v_pk_mul_f16 v42, 0xb08eb93d, v32 op_sel_hi:[1,0]
	v_pk_mul_f16 v46, 0x3bebba0c, v43 op_sel_hi:[1,0]
	;; [unrolled: 1-line block ×3, first 2 shown]
	v_add_f16_e32 v5, v38, v40
	s_waitcnt lgkmcnt(0)
	s_barrier
	v_add_f16_e32 v47, v42, v46
	buffer_gl0_inv
	v_add_f16_e32 v5, v5, v44
	v_pk_mul_f16 v44, 0x3abbbbad, v27 op_sel_hi:[1,0]
	v_add_f16_e32 v5, v47, v5
	v_add_f16_e32 v47, v44, v45
	;; [unrolled: 1-line block ×3, first 2 shown]
	s_and_saveexec_b32 s1, s0
	s_cbranch_execz .LBB0_15
; %bb.14:
	v_add_f16_e32 v26, v4, v26
	v_pack_b32_f16 v48, v39, v39
	v_mul_f16_e32 v39, 0xb482, v39
	v_pack_b32_f16 v47, v30, v30
	v_pack_b32_f16 v50, v36, v36
	v_add_f16_e32 v25, v26, v25
	v_mul_f16_e32 v55, 0xbbad, v30
	v_mul_f16_e32 v36, 0x3853, v36
	v_pk_add_f16 v33, v33, v34 neg_lo:[0,1] neg_hi:[0,1]
	v_fma_f16 v30, v30, 0xbbad, -v39
	v_add_f16_e32 v24, v25, v24
	v_pack_b32_f16 v51, v41, v41
	v_pack_b32_f16 v53, v43, v43
	v_mul_f16_e32 v41, 0xba0c, v41
	v_mul_f16_e32 v43, 0x3b47, v43
	v_add_f16_e32 v23, v24, v23
	v_pk_add_f16 v34, v35, v37 neg_lo:[0,1] neg_hi:[0,1]
	v_pk_add_f16 v33, v4, v33 op_sel_hi:[0,1]
	v_add_f16_e32 v30, v4, v30
	v_pack_b32_f16 v49, v29, v29
	v_add_f16_e32 v17, v23, v17
	v_pack_b32_f16 v26, v31, v31
	v_pack_b32_f16 v52, v32, v32
	v_mul_f16_e32 v24, 0x3abb, v29
	v_mul_f16_e32 v56, 0xb93d, v31
	v_add_f16_e32 v16, v17, v16
	v_mul_f16_e32 v23, 0x36a6, v32
	v_pk_add_f16 v17, v38, v40 neg_lo:[0,1] neg_hi:[0,1]
	v_pk_add_f16 v35, v42, v46 neg_lo:[0,1] neg_hi:[0,1]
	v_pk_mul_f16 v38, 0xba0c3482, v50
	v_add_f16_e32 v12, v16, v12
	v_fma_f16 v16, v29, 0x3abb, -v36
	v_fma_f16 v29, v31, 0xb93d, -v41
	v_pk_add_f16 v31, v34, v33
	v_pk_mul_f16 v34, 0xbb47bbeb, v48
	v_add_f16_e32 v10, v12, v10
	v_fma_f16 v12, v32, 0x36a6, -v43
	v_pk_mul_f16 v32, 0xba0cbbeb, v48
	v_add_f16_e32 v16, v16, v30
	v_pk_add_f16 v17, v17, v31
	v_add_f16_e32 v9, v10, v9
	v_pk_mul_f16 v10, 0x3beb3482, v50
	v_pk_fma_f16 v30, 0xb93db08e, v47, v32 neg_lo:[0,0,1] neg_hi:[0,0,1]
	v_add_f16_e32 v16, v29, v16
	v_pk_add_f16 v17, v35, v17
	v_add_f16_e32 v8, v9, v8
	v_pk_add_f16 v9, v44, v45 neg_lo:[0,1] neg_hi:[0,1]
	v_pk_add_f16 v29, v4, v30 op_sel_hi:[0,1]
	v_pk_fma_f16 v30, 0xb08ebbad, v49, v10 neg_lo:[0,0,1] neg_hi:[0,0,1]
	v_add_f16_e32 v12, v12, v16
	v_pk_mul_f16 v16, 0xb93db08e, v47
	v_pk_mul_f16 v31, 0xb8533b47, v51
	v_pk_add_f16 v9, v9, v17
	v_pk_add_f16 v17, v30, v29
	v_pk_mul_f16 v30, 0xb08ebbad, v49
	v_bfi_b32 v16, 0xffff, v55, v16
	v_bfi_b32 v32, 0xffff, v39, v32
	v_pk_fma_f16 v29, 0x3abb36a6, v26, v31 neg_lo:[0,0,1] neg_hi:[0,0,1]
	v_pk_mul_f16 v33, 0xb482b853, v53
	v_pk_mul_f16 v35, 0x3abb36a6, v26
	v_pk_fma_f16 v34, 0x36a6b08e, v47, v34
	v_pk_add_f16 v16, v16, v32
	v_bfi_b32 v24, 0xffff, v24, v30
	v_bfi_b32 v10, 0xffff, v36, v10
	v_pk_add_f16 v17, v29, v17
	v_pk_fma_f16 v37, 0xbbad3abb, v52, v33 neg_lo:[0,0,1] neg_hi:[0,0,1]
	v_pack_b32_f16 v25, v27, v27
	v_pack_b32_f16 v54, v28, v28
	v_pk_mul_f16 v29, 0xbbad3abb, v52
	v_pk_add_f16 v34, v4, v34 op_sel_hi:[0,1]
	v_pk_add_f16 v4, v4, v16 op_sel_hi:[0,1]
	v_pk_add_f16 v10, v24, v10
	v_bfi_b32 v16, 0xffff, v56, v35
	v_bfi_b32 v24, 0xffff, v41, v31
	v_pk_add_f16 v17, v37, v17
	v_pk_fma_f16 v37, 0xb93dbbad, v49, v38
	v_pk_mul_f16 v38, 0x34823b47, v51
	v_pk_mul_f16 v30, 0x3b47ba0c, v54
	;; [unrolled: 1-line block ×3, first 2 shown]
	v_pk_add_f16 v4, v10, v4
	v_pk_add_f16 v10, v16, v24
	v_bfi_b32 v16, 0xffff, v23, v29
	v_bfi_b32 v23, 0xffff, v43, v33
	v_mul_f16_e32 v24, 0xb08e, v27
	v_mul_f16_e32 v28, 0xbbeb, v28
	v_pk_add_f16 v32, v37, v34
	v_pk_fma_f16 v26, 0xbbad36a6, v26, v38
	v_pk_mul_f16 v29, 0x3bebb853, v53
	v_pk_fma_f16 v34, 0x36a6b93d, v25, v30 neg_lo:[0,0,1] neg_hi:[0,0,1]
	v_pk_add_f16 v4, v10, v4
	v_pk_add_f16 v10, v16, v23
	v_bfi_b32 v16, 0xffff, v24, v31
	v_bfi_b32 v23, 0xffff, v28, v30
	v_fma_f16 v27, v27, 0xb08e, -v28
	v_pk_add_f16 v26, v26, v32
	v_pk_fma_f16 v24, 0xb08e3abb, v52, v29
	v_pk_mul_f16 v28, 0x3853ba0c, v54
	v_pk_add_f16 v4, v10, v4
	v_pk_add_f16 v10, v16, v23
	;; [unrolled: 1-line block ×3, first 2 shown]
	v_add_f16_e32 v12, v27, v12
	v_pk_add_f16 v17, v24, v26
	v_pk_fma_f16 v27, 0x3abbb93d, v25, v28
	v_pk_add_f16 v26, v10, v4
	v_mad_u32_u24 v4, v2, 20, v7
	v_alignbit_b32 v25, v12, v16, 16
	v_alignbit_b32 v24, v16, v9, 16
	v_pack_b32_f16 v23, v8, v9
	v_pk_add_f16 v8, v27, v17
	ds_write_b128 v4, v[23:26]
	ds_write_b32 v4, v8 offset:16
	ds_write_b16 v4, v5 offset:20
.LBB0_15:
	s_or_b32 exec_lo, exec_lo, s1
	v_and_b32_e32 v4, 0xff, v2
	v_add_nc_u32_e32 v12, 0x9a, v2
	v_mov_b32_e32 v17, 0xba2f
	v_add_nc_u32_e32 v9, 0x134, v2
	v_add_nc_u32_e32 v8, 0x1ce, v2
	v_mul_lo_u16 v4, 0x75, v4
	v_mov_b32_e32 v23, 2
	s_waitcnt lgkmcnt(0)
	v_mul_u32_u24_sdwa v24, v9, v17 dst_sel:DWORD dst_unused:UNUSED_PAD src0_sel:WORD_0 src1_sel:DWORD
	v_mul_u32_u24_sdwa v25, v8, v17 dst_sel:DWORD dst_unused:UNUSED_PAD src0_sel:WORD_0 src1_sel:DWORD
	v_lshrrev_b16 v10, 8, v4
	s_barrier
	buffer_gl0_inv
	v_lshrrev_b32_e32 v24, 19, v24
	v_lshrrev_b32_e32 v25, 19, v25
	v_sub_nc_u16 v4, v2, v10
	v_mov_b32_e32 v46, 44
	v_cmp_gt_u32_e64 s0, 0x42, v2
	v_mul_lo_u16 v28, v24, 11
	v_mul_lo_u16 v29, v25, 11
	v_lshrrev_b16 v16, 1, v4
	v_add_nc_u32_e32 v4, 0x268, v2
	v_mul_u32_u24_e32 v24, 44, v24
	v_sub_nc_u16 v28, v9, v28
	v_sub_nc_u16 v44, v8, v29
	v_and_b32_e32 v16, 0x7f, v16
	v_mul_u32_u24_e32 v25, 44, v25
	v_lshlrev_b32_sdwa v31, v23, v28 dst_sel:DWORD dst_unused:UNUSED_PAD src0_sel:DWORD src1_sel:WORD_0
	v_lshlrev_b32_sdwa v32, v23, v44 dst_sel:DWORD dst_unused:UNUSED_PAD src0_sel:DWORD src1_sel:WORD_0
	v_add_nc_u16 v10, v16, v10
	v_mul_u32_u24_sdwa v16, v12, v17 dst_sel:DWORD dst_unused:UNUSED_PAD src0_sel:WORD_0 src1_sel:DWORD
	v_mul_u32_u24_sdwa v17, v4, v17 dst_sel:DWORD dst_unused:UNUSED_PAD src0_sel:WORD_0 src1_sel:DWORD
	v_lshrrev_b16 v10, 3, v10
	v_lshrrev_b32_e32 v16, 19, v16
	v_lshrrev_b32_e32 v17, 19, v17
	v_mul_lo_u16 v26, v10, 11
	v_mul_lo_u16 v27, v16, 11
	;; [unrolled: 1-line block ×3, first 2 shown]
	v_mul_u32_u24_e32 v16, 44, v16
	v_mul_u32_u24_e32 v17, 44, v17
	v_sub_nc_u16 v26, v2, v26
	v_sub_nc_u16 v27, v12, v27
	;; [unrolled: 1-line block ×3, first 2 shown]
	v_mul_u32_u24_sdwa v10, v10, v46 dst_sel:DWORD dst_unused:UNUSED_PAD src0_sel:WORD_0 src1_sel:DWORD
	v_lshlrev_b32_sdwa v29, v23, v26 dst_sel:DWORD dst_unused:UNUSED_PAD src0_sel:DWORD src1_sel:BYTE_0
	v_lshlrev_b32_sdwa v30, v23, v27 dst_sel:DWORD dst_unused:UNUSED_PAD src0_sel:DWORD src1_sel:WORD_0
	v_lshlrev_b32_sdwa v23, v23, v45 dst_sel:DWORD dst_unused:UNUSED_PAD src0_sel:DWORD src1_sel:WORD_0
	s_clause 0x4
	global_load_dword v34, v29, s[8:9]
	global_load_dword v35, v30, s[8:9]
	;; [unrolled: 1-line block ×5, first 2 shown]
	ds_read_u16 v39, v7 offset:1848
	ds_read_u16 v40, v7 offset:2156
	ds_read_u16 v29, v7
	ds_read_u16 v30, v7 offset:308
	ds_read_u16 v31, v7 offset:616
	;; [unrolled: 1-line block ×7, first 2 shown]
	v_mov_b32_e32 v23, 1
	s_waitcnt vmcnt(0) lgkmcnt(0)
	s_barrier
	buffer_gl0_inv
	v_lshlrev_b32_sdwa v27, v23, v27 dst_sel:DWORD dst_unused:UNUSED_PAD src0_sel:DWORD src1_sel:WORD_0
	v_lshlrev_b32_sdwa v48, v23, v45 dst_sel:DWORD dst_unused:UNUSED_PAD src0_sel:DWORD src1_sel:WORD_0
	v_lshlrev_b32_sdwa v28, v23, v28 dst_sel:DWORD dst_unused:UNUSED_PAD src0_sel:DWORD src1_sel:WORD_0
	v_lshlrev_b32_sdwa v44, v23, v44 dst_sel:DWORD dst_unused:UNUSED_PAD src0_sel:DWORD src1_sel:WORD_0
	v_add3_u32 v47, 0, v16, v27
	v_lshlrev_b32_sdwa v16, v23, v26 dst_sel:DWORD dst_unused:UNUSED_PAD src0_sel:DWORD src1_sel:BYTE_0
	v_add3_u32 v46, 0, v17, v48
	v_add3_u32 v45, 0, v24, v28
	;; [unrolled: 1-line block ×3, first 2 shown]
                                        ; implicit-def: $vgpr28
                                        ; implicit-def: $vgpr27
	v_add3_u32 v48, 0, v10, v16
	v_mul_f16_sdwa v10, v43, v34 dst_sel:DWORD dst_unused:UNUSED_PAD src0_sel:DWORD src1_sel:WORD_1
	v_mul_f16_sdwa v16, v39, v35 dst_sel:DWORD dst_unused:UNUSED_PAD src0_sel:DWORD src1_sel:WORD_1
	;; [unrolled: 1-line block ×5, first 2 shown]
	v_fmac_f16_e32 v10, v15, v34
	v_fmac_f16_e32 v16, v6, v35
	;; [unrolled: 1-line block ×5, first 2 shown]
	v_sub_f16_e32 v26, v18, v10
	v_sub_f16_e32 v16, v19, v16
	;; [unrolled: 1-line block ×5, first 2 shown]
	v_fma_f16 v18, v18, 2.0, -v26
	v_fma_f16 v19, v19, 2.0, -v16
	;; [unrolled: 1-line block ×5, first 2 shown]
	ds_write_b16 v48, v26 offset:22
	ds_write_b16 v48, v18
	ds_write_b16 v47, v19
	ds_write_b16 v47, v16 offset:22
	ds_write_b16 v45, v20
	ds_write_b16 v45, v17 offset:22
	;; [unrolled: 2-line block ×4, first 2 shown]
	s_waitcnt lgkmcnt(0)
	s_barrier
	buffer_gl0_inv
	ds_read_u16 v16, v7
	ds_read_u16 v23, v7 offset:440
	ds_read_u16 v22, v7 offset:880
	;; [unrolled: 1-line block ×6, first 2 shown]
                                        ; implicit-def: $vgpr26
	s_and_saveexec_b32 s1, s0
	s_cbranch_execz .LBB0_17
; %bb.16:
	ds_read_u16 v10, v7 offset:308
	ds_read_u16 v25, v7 offset:748
	;; [unrolled: 1-line block ×7, first 2 shown]
.LBB0_17:
	s_or_b32 exec_lo, exec_lo, s1
	v_mul_f16_sdwa v15, v15, v34 dst_sel:DWORD dst_unused:UNUSED_PAD src0_sel:DWORD src1_sel:WORD_1
	v_mul_f16_sdwa v6, v6, v35 dst_sel:DWORD dst_unused:UNUSED_PAD src0_sel:DWORD src1_sel:WORD_1
	;; [unrolled: 1-line block ×5, first 2 shown]
	v_fma_f16 v15, v43, v34, -v15
	v_fma_f16 v6, v39, v35, -v6
	;; [unrolled: 1-line block ×5, first 2 shown]
	v_sub_f16_e32 v15, v29, v15
	v_sub_f16_e32 v20, v30, v6
	;; [unrolled: 1-line block ×5, first 2 shown]
	v_fma_f16 v13, v29, 2.0, -v15
	v_fma_f16 v14, v30, 2.0, -v20
	;; [unrolled: 1-line block ×5, first 2 shown]
	s_waitcnt lgkmcnt(0)
	s_barrier
	buffer_gl0_inv
	ds_write_b16 v48, v13
	ds_write_b16 v48, v15 offset:22
	ds_write_b16 v47, v14
	ds_write_b16 v47, v20 offset:22
	;; [unrolled: 2-line block ×5, first 2 shown]
	s_waitcnt lgkmcnt(0)
	s_barrier
	buffer_gl0_inv
	ds_read_u16 v13, v7
	ds_read_u16 v40, v7 offset:440
	ds_read_u16 v39, v7 offset:880
	;; [unrolled: 1-line block ×6, first 2 shown]
                                        ; implicit-def: $vgpr44
                                        ; implicit-def: $vgpr14
                                        ; implicit-def: $vgpr43
	s_and_saveexec_b32 s1, s0
	s_cbranch_execz .LBB0_19
; %bb.18:
	ds_read_u16 v6, v7 offset:308
	ds_read_u16 v42, v7 offset:748
	;; [unrolled: 1-line block ×7, first 2 shown]
.LBB0_19:
	s_or_b32 exec_lo, exec_lo, s1
	v_mov_b32_e32 v11, 0xba2f
	v_lshrrev_b16 v20, 1, v2
	v_mov_b32_e32 v29, 6
	v_mov_b32_e32 v45, 0x134
	;; [unrolled: 1-line block ×3, first 2 shown]
	v_mul_u32_u24_sdwa v11, v12, v11 dst_sel:DWORD dst_unused:UNUSED_PAD src0_sel:WORD_0 src1_sel:DWORD
	v_and_b32_e32 v20, 0x7f, v20
	v_lshrrev_b32_e32 v11, 20, v11
	v_mul_lo_u16 v20, 0xbb, v20
	v_mul_lo_u16 v11, v11, 22
	v_lshrrev_b16 v20, 11, v20
	v_sub_nc_u16 v11, v12, v11
	v_mul_lo_u16 v31, v20, 22
	v_mul_u32_u24_sdwa v30, v11, v29 dst_sel:DWORD dst_unused:UNUSED_PAD src0_sel:WORD_0 src1_sel:DWORD
	v_sub_nc_u16 v31, v2, v31
	v_lshlrev_b32_e32 v30, 2, v30
	v_mul_u32_u24_sdwa v29, v31, v29 dst_sel:DWORD dst_unused:UNUSED_PAD src0_sel:BYTE_0 src1_sel:DWORD
	s_clause 0x1
	global_load_dwordx4 v[47:50], v30, s[8:9] offset:44
	global_load_dwordx2 v[55:56], v30, s[8:9] offset:60
	v_lshlrev_b32_e32 v29, 2, v29
	v_lshlrev_b32_sdwa v30, v46, v31 dst_sel:DWORD dst_unused:UNUSED_PAD src0_sel:DWORD src1_sel:BYTE_0
	s_clause 0x1
	global_load_dwordx4 v[51:54], v29, s[8:9] offset:44
	global_load_dwordx2 v[57:58], v29, s[8:9] offset:60
	v_mul_u32_u24_sdwa v29, v20, v45 dst_sel:DWORD dst_unused:UNUSED_PAD src0_sel:WORD_0 src1_sel:DWORD
	v_lshrrev_b16 v20, 1, v12
	s_waitcnt vmcnt(0) lgkmcnt(0)
	s_barrier
	buffer_gl0_inv
	v_add3_u32 v34, 0, v29, v30
	v_mul_f16_sdwa v30, v42, v47 dst_sel:DWORD dst_unused:UNUSED_PAD src0_sel:DWORD src1_sel:WORD_1
	v_mul_f16_sdwa v12, v25, v47 dst_sel:DWORD dst_unused:UNUSED_PAD src0_sel:DWORD src1_sel:WORD_1
	;; [unrolled: 1-line block ×11, first 2 shown]
	v_fmac_f16_e32 v30, v25, v47
	v_fma_f16 v25, v42, v47, -v12
	v_mul_f16_sdwa v12, v40, v51 dst_sel:DWORD dst_unused:UNUSED_PAD src0_sel:DWORD src1_sel:WORD_1
	v_fmac_f16_e32 v31, v3, v49
	v_mul_f16_sdwa v3, v39, v52 dst_sel:DWORD dst_unused:UNUSED_PAD src0_sel:DWORD src1_sel:WORD_1
	v_fmac_f16_e32 v32, v28, v50
	v_fma_f16 v28, v44, v50, -v61
	v_mul_f16_sdwa v44, v36, v57 dst_sel:DWORD dst_unused:UNUSED_PAD src0_sel:DWORD src1_sel:WORD_1
	v_fmac_f16_e32 v33, v27, v55
	v_fma_f16 v27, v43, v55, -v62
	v_mul_f16_sdwa v43, v37, v58 dst_sel:DWORD dst_unused:UNUSED_PAD src0_sel:DWORD src1_sel:WORD_1
	v_mul_f16_sdwa v63, v26, v56 dst_sel:DWORD dst_unused:UNUSED_PAD src0_sel:DWORD src1_sel:WORD_1
	v_fmac_f16_e32 v29, v24, v48
	v_fma_f16 v24, v41, v48, -v59
	v_fma_f16 v5, v5, v49, -v60
	v_mul_f16_sdwa v48, v22, v52 dst_sel:DWORD dst_unused:UNUSED_PAD src0_sel:DWORD src1_sel:WORD_1
	v_mul_f16_sdwa v41, v38, v53 dst_sel:DWORD dst_unused:UNUSED_PAD src0_sel:DWORD src1_sel:WORD_1
	v_mul_f16_sdwa v49, v19, v53 dst_sel:DWORD dst_unused:UNUSED_PAD src0_sel:DWORD src1_sel:WORD_1
	v_mul_f16_sdwa v42, v15, v54 dst_sel:DWORD dst_unused:UNUSED_PAD src0_sel:DWORD src1_sel:WORD_1
	v_mul_f16_sdwa v50, v18, v54 dst_sel:DWORD dst_unused:UNUSED_PAD src0_sel:DWORD src1_sel:WORD_1
	v_mul_f16_sdwa v59, v17, v57 dst_sel:DWORD dst_unused:UNUSED_PAD src0_sel:DWORD src1_sel:WORD_1
	v_fmac_f16_e32 v35, v26, v56
	v_mul_f16_sdwa v26, v21, v58 dst_sel:DWORD dst_unused:UNUSED_PAD src0_sel:DWORD src1_sel:WORD_1
	v_fmac_f16_e32 v12, v23, v51
	v_fmac_f16_e32 v3, v22, v52
	;; [unrolled: 1-line block ×4, first 2 shown]
	v_mul_f16_sdwa v47, v23, v51 dst_sel:DWORD dst_unused:UNUSED_PAD src0_sel:DWORD src1_sel:WORD_1
	v_fma_f16 v22, v39, v52, -v48
	v_fmac_f16_e32 v41, v19, v53
	v_fma_f16 v19, v38, v53, -v49
	v_fmac_f16_e32 v42, v18, v54
	v_fma_f16 v18, v37, v58, -v26
	v_fma_f16 v15, v15, v54, -v50
	;; [unrolled: 1-line block ×3, first 2 shown]
	v_add_f16_e32 v21, v12, v43
	v_add_f16_e32 v26, v3, v44
	v_fma_f16 v23, v40, v51, -v47
	v_add_f16_e32 v37, v41, v42
	v_sub_f16_e32 v38, v22, v17
	v_sub_f16_e32 v39, v15, v19
	v_add_f16_e32 v40, v26, v21
	v_sub_f16_e32 v36, v23, v18
	v_sub_f16_e32 v47, v26, v21
	;; [unrolled: 1-line block ×4, first 2 shown]
	v_add_f16_e32 v48, v39, v38
	v_sub_f16_e32 v49, v39, v38
	v_add_f16_e32 v37, v37, v40
	v_sub_f16_e32 v38, v38, v36
	v_sub_f16_e32 v39, v36, v39
	v_add_f16_e32 v36, v48, v36
	v_mul_f16_e32 v21, 0x3a52, v21
	v_mul_f16_e32 v48, 0x3846, v49
	v_add_f16_e32 v16, v16, v37
	v_mul_f16_e32 v49, 0xbb00, v38
	v_mul_f16_e32 v40, 0x2b26, v26
	v_fmamk_f16 v26, v26, 0x2b26, v21
	v_fmamk_f16 v50, v39, 0xb574, v48
	;; [unrolled: 1-line block ×3, first 2 shown]
	v_fma_f16 v38, v38, 0xbb00, -v48
	v_fma_f16 v39, v39, 0x3574, -v49
	;; [unrolled: 1-line block ×4, first 2 shown]
	v_fmac_f16_e32 v50, 0xb70e, v36
	v_add_f16_e32 v26, v26, v37
	v_fmac_f16_e32 v38, 0xb70e, v36
	v_fmac_f16_e32 v39, 0xb70e, v36
	v_add_f16_e32 v36, v21, v37
	v_add_f16_e32 v37, v40, v37
	v_fma_f16 v21, v14, v56, -v63
	v_add_f16_e32 v14, v50, v26
	ds_write_b16 v34, v16
	v_add_f16_e32 v16, v39, v36
	v_sub_f16_e32 v40, v37, v38
	v_add_f16_e32 v37, v38, v37
	v_sub_f16_e32 v36, v36, v39
	v_sub_f16_e32 v26, v26, v50
	ds_write_b16 v34, v14 offset:44
	ds_write_b16 v34, v16 offset:88
	ds_write_b16 v34, v40 offset:132
	ds_write_b16 v34, v37 offset:176
	ds_write_b16 v34, v36 offset:220
	ds_write_b16 v34, v26 offset:264
	s_and_saveexec_b32 s1, s0
	s_cbranch_execz .LBB0_21
; %bb.20:
	v_add_f16_e32 v14, v30, v35
	v_add_f16_e32 v16, v29, v33
	;; [unrolled: 1-line block ×3, first 2 shown]
	v_sub_f16_e32 v36, v25, v21
	v_sub_f16_e32 v37, v28, v5
	;; [unrolled: 1-line block ×3, first 2 shown]
	v_add_f16_e32 v38, v16, v14
	v_and_b32_e32 v40, 0x7f, v20
	v_sub_f16_e32 v47, v14, v26
	v_sub_f16_e32 v48, v26, v16
	;; [unrolled: 1-line block ×3, first 2 shown]
	v_add_f16_e32 v26, v26, v38
	v_sub_f16_e32 v38, v36, v37
	v_add_f16_e32 v37, v37, v39
	v_sub_f16_e32 v39, v39, v36
	v_mul_f16_e32 v47, 0x3a52, v47
	v_add_f16_e32 v10, v10, v26
	v_mul_f16_e32 v49, 0x3846, v49
	v_add_f16_e32 v36, v37, v36
	v_mul_lo_u16 v37, 0xbb, v40
	v_sub_f16_e32 v14, v16, v14
	v_mul_f16_e32 v16, 0xbb00, v39
	v_mul_f16_e32 v50, 0x2b26, v48
	v_fmamk_f16 v48, v48, 0x2b26, v47
	v_lshrrev_b16 v37, 11, v37
	v_fmamk_f16 v26, v26, 0xbcab, v10
	v_fmamk_f16 v51, v38, 0xb574, v49
	v_fma_f16 v40, v14, 0xb9e0, -v47
	v_fma_f16 v16, v38, 0x3574, -v16
	;; [unrolled: 1-line block ×4, first 2 shown]
	v_mul_u32_u24_sdwa v37, v37, v45 dst_sel:DWORD dst_unused:UNUSED_PAD src0_sel:WORD_0 src1_sel:DWORD
	v_lshlrev_b32_sdwa v45, v46, v11 dst_sel:DWORD dst_unused:UNUSED_PAD src0_sel:DWORD src1_sel:WORD_0
	v_add_f16_e32 v38, v48, v26
	v_fmac_f16_e32 v51, 0xb70e, v36
	v_add_f16_e32 v40, v40, v26
	v_fmac_f16_e32 v16, 0xb70e, v36
	v_fmac_f16_e32 v39, 0xb70e, v36
	v_add_f16_e32 v14, v14, v26
	v_add3_u32 v36, 0, v37, v45
	v_add_f16_e32 v37, v51, v38
	v_sub_f16_e32 v26, v40, v16
	v_add_f16_e32 v16, v16, v40
	v_sub_f16_e32 v46, v38, v51
	v_sub_f16_e32 v38, v14, v39
	v_add_f16_e32 v14, v39, v14
	ds_write_b16 v36, v10
	ds_write_b16 v36, v37 offset:44
	ds_write_b16 v36, v16 offset:88
	;; [unrolled: 1-line block ×6, first 2 shown]
.LBB0_21:
	s_or_b32 exec_lo, exec_lo, s1
	v_add_f16_e32 v10, v23, v18
	v_add_f16_e32 v14, v22, v17
	;; [unrolled: 1-line block ×3, first 2 shown]
	v_sub_f16_e32 v3, v3, v44
	v_sub_f16_e32 v16, v42, v41
	;; [unrolled: 1-line block ×3, first 2 shown]
	v_add_f16_e32 v17, v14, v10
	v_sub_f16_e32 v18, v14, v10
	v_sub_f16_e32 v10, v10, v15
	;; [unrolled: 1-line block ×3, first 2 shown]
	v_add_f16_e32 v19, v16, v3
	v_add_f16_e32 v15, v15, v17
	v_sub_f16_e32 v17, v16, v3
	v_sub_f16_e32 v16, v12, v16
	;; [unrolled: 1-line block ×3, first 2 shown]
	v_add_f16_e32 v22, v19, v12
	v_add_f16_e32 v23, v13, v15
	v_mul_f16_e32 v10, 0x3a52, v10
	v_mul_f16_e32 v12, 0x2b26, v14
	;; [unrolled: 1-line block ×4, first 2 shown]
	v_fmamk_f16 v15, v15, 0xbcab, v23
	v_fmamk_f16 v14, v14, 0x2b26, v10
	v_fma_f16 v12, v18, 0x39e0, -v12
	v_fma_f16 v10, v18, 0xb9e0, -v10
	v_fmamk_f16 v26, v16, 0xb574, v13
	v_fma_f16 v36, v3, 0xbb00, -v13
	v_fma_f16 v37, v16, 0x3574, -v17
	v_add_f16_e32 v38, v14, v15
	v_add_f16_e32 v39, v12, v15
	;; [unrolled: 1-line block ×3, first 2 shown]
	s_waitcnt lgkmcnt(0)
	s_barrier
	buffer_gl0_inv
	ds_read_u16 v3, v7
	ds_read_u16 v12, v7 offset:2156
	ds_read_u16 v16, v7 offset:1848
	;; [unrolled: 1-line block ×9, first 2 shown]
	v_fmac_f16_e32 v26, 0xb70e, v22
	v_fmac_f16_e32 v37, 0xb70e, v22
	v_fmac_f16_e32 v36, 0xb70e, v22
	s_waitcnt lgkmcnt(0)
	s_barrier
	v_sub_f16_e32 v22, v38, v26
	v_sub_f16_e32 v41, v40, v37
	v_add_f16_e32 v42, v36, v39
	v_sub_f16_e32 v36, v39, v36
	v_add_f16_e32 v37, v37, v40
	v_add_f16_e32 v26, v26, v38
	buffer_gl0_inv
	ds_write_b16 v34, v23
	ds_write_b16 v34, v22 offset:44
	ds_write_b16 v34, v41 offset:88
	;; [unrolled: 1-line block ×6, first 2 shown]
	s_and_saveexec_b32 s1, s0
	s_cbranch_execz .LBB0_23
; %bb.22:
	v_add_f16_e32 v21, v25, v21
	v_add_f16_e32 v22, v24, v27
	;; [unrolled: 1-line block ×3, first 2 shown]
	v_sub_f16_e32 v24, v29, v33
	v_sub_f16_e32 v25, v32, v31
	;; [unrolled: 1-line block ×3, first 2 shown]
	v_add_f16_e32 v26, v22, v21
	v_sub_f16_e32 v27, v22, v21
	v_sub_f16_e32 v21, v21, v5
	;; [unrolled: 1-line block ×3, first 2 shown]
	v_add_f16_e32 v28, v25, v24
	v_add_f16_e32 v5, v5, v26
	v_sub_f16_e32 v26, v25, v24
	v_sub_f16_e32 v25, v23, v25
	;; [unrolled: 1-line block ×3, first 2 shown]
	v_add_f16_e32 v23, v28, v23
	v_add_f16_e32 v6, v6, v5
	v_mul_f16_e32 v28, 0x2b26, v22
	v_and_b32_e32 v20, 0x7f, v20
	v_mul_f16_e32 v21, 0x3a52, v21
	v_mul_f16_e32 v26, 0x3846, v26
	v_mul_f16_e32 v29, 0xbb00, v24
	v_fmamk_f16 v5, v5, 0xbcab, v6
	v_fma_f16 v28, v27, 0x39e0, -v28
	v_mul_lo_u16 v20, 0xbb, v20
	v_fmamk_f16 v22, v22, 0x2b26, v21
	v_fma_f16 v21, v27, 0xb9e0, -v21
	v_fmamk_f16 v27, v25, 0xb574, v26
	v_fma_f16 v24, v24, 0xbb00, -v26
	v_fma_f16 v25, v25, 0x3574, -v29
	v_add_f16_e32 v26, v28, v5
	v_lshrrev_b16 v20, 11, v20
	v_mov_b32_e32 v28, 0x134
	v_mov_b32_e32 v29, 1
	v_add_f16_e32 v22, v22, v5
	v_fmac_f16_e32 v27, 0xb70e, v23
	v_add_f16_e32 v5, v21, v5
	v_mul_u32_u24_sdwa v20, v20, v28 dst_sel:DWORD dst_unused:UNUSED_PAD src0_sel:WORD_0 src1_sel:DWORD
	v_lshlrev_b32_sdwa v11, v29, v11 dst_sel:DWORD dst_unused:UNUSED_PAD src0_sel:DWORD src1_sel:WORD_0
	v_fmac_f16_e32 v25, 0xb70e, v23
	v_fmac_f16_e32 v24, 0xb70e, v23
	v_sub_f16_e32 v21, v22, v27
	v_add_f16_e32 v22, v27, v22
	v_add3_u32 v11, 0, v20, v11
	v_sub_f16_e32 v23, v5, v25
	v_add_f16_e32 v20, v24, v26
	v_sub_f16_e32 v24, v26, v24
	v_add_f16_e32 v5, v25, v5
	ds_write_b16 v11, v6
	ds_write_b16 v11, v21 offset:44
	ds_write_b16 v11, v23 offset:88
	;; [unrolled: 1-line block ×6, first 2 shown]
.LBB0_23:
	s_or_b32 exec_lo, exec_lo, s1
	v_lshlrev_b32_e32 v5, 2, v2
	v_mov_b32_e32 v6, 0
	s_waitcnt lgkmcnt(0)
	s_barrier
	buffer_gl0_inv
	v_lshlrev_b64 v[20:21], 2, v[5:6]
	v_add_co_u32 v20, s0, s8, v20
	v_add_co_ci_u32_e64 v21, s0, s9, v21, s0
	global_load_dwordx4 v[20:23], v[20:21], off offset:572
	ds_read_u16 v5, v7 offset:616
	ds_read_u16 v11, v7 offset:1232
	;; [unrolled: 1-line block ×8, first 2 shown]
	ds_read_u16 v30, v7
	ds_read_u16 v31, v7 offset:308
	s_waitcnt vmcnt(0) lgkmcnt(0)
	s_barrier
	buffer_gl0_inv
	v_mul_f16_sdwa v32, v5, v20 dst_sel:DWORD dst_unused:UNUSED_PAD src0_sel:DWORD src1_sel:WORD_1
	v_mul_f16_sdwa v34, v11, v21 dst_sel:DWORD dst_unused:UNUSED_PAD src0_sel:DWORD src1_sel:WORD_1
	;; [unrolled: 1-line block ×16, first 2 shown]
	v_fmac_f16_e32 v32, v19, v20
	v_fmac_f16_e32 v34, v17, v21
	;; [unrolled: 1-line block ×4, first 2 shown]
	v_fma_f16 v5, v5, v20, -v33
	v_fmac_f16_e32 v40, v15, v20
	v_fmac_f16_e32 v42, v13, v21
	;; [unrolled: 1-line block ×4, first 2 shown]
	v_fma_f16 v11, v11, v21, -v35
	v_fma_f16 v16, v24, v22, -v37
	v_fma_f16 v17, v25, v23, -v39
	v_fma_f16 v15, v28, v20, -v41
	v_fma_f16 v13, v27, v21, -v43
	v_fma_f16 v12, v26, v22, -v45
	v_fma_f16 v14, v29, v23, -v47
	v_add_f16_e32 v18, v3, v32
	v_add_f16_e32 v19, v34, v36
	;; [unrolled: 1-line block ×6, first 2 shown]
	v_sub_f16_e32 v22, v32, v34
	v_sub_f16_e32 v23, v38, v36
	;; [unrolled: 1-line block ×4, first 2 shown]
	v_add_f16_e32 v41, v10, v40
	v_sub_f16_e32 v20, v5, v17
	v_add_f16_e32 v28, v11, v16
	v_add_f16_e32 v37, v5, v17
	v_sub_f16_e32 v45, v15, v14
	v_add_f16_e32 v53, v31, v15
	v_sub_f16_e32 v56, v15, v13
	v_add_f16_e32 v58, v15, v14
	v_sub_f16_e32 v15, v13, v15
	v_sub_f16_e32 v59, v12, v14
	v_add_f16_e32 v18, v18, v34
	v_fma_f16 v19, -0.5, v19, v3
	v_sub_f16_e32 v21, v11, v16
	v_fmac_f16_e32 v3, -0.5, v24
	v_sub_f16_e32 v33, v5, v11
	v_sub_f16_e32 v5, v11, v5
	;; [unrolled: 1-line block ×3, first 2 shown]
	v_add_f16_e32 v11, v27, v11
	v_fma_f16 v27, -0.5, v43, v10
	v_fmac_f16_e32 v10, -0.5, v50
	v_add_f16_e32 v22, v22, v23
	v_add_f16_e32 v23, v25, v26
	;; [unrolled: 1-line block ×3, first 2 shown]
	v_fma_f16 v24, -0.5, v28, v30
	v_fmac_f16_e32 v30, -0.5, v37
	v_add_f16_e32 v37, v15, v59
	v_add_f16_e32 v15, v18, v36
	v_fmamk_f16 v18, v20, 0xbb9c, v19
	v_sub_f16_e32 v29, v32, v38
	v_sub_f16_e32 v32, v34, v36
	v_fmamk_f16 v36, v21, 0x3b9c, v3
	v_sub_f16_e32 v35, v17, v16
	v_sub_f16_e32 v48, v40, v42
	;; [unrolled: 1-line block ×5, first 2 shown]
	v_fmac_f16_e32 v19, 0x3b9c, v20
	v_fmac_f16_e32 v3, 0xbb9c, v21
	v_fmamk_f16 v42, v47, 0x3b9c, v10
	v_fmac_f16_e32 v10, 0xbb9c, v47
	v_sub_f16_e32 v39, v16, v17
	v_sub_f16_e32 v49, v46, v44
	v_add_f16_e32 v54, v13, v12
	v_add_f16_e32 v13, v53, v13
	;; [unrolled: 1-line block ×4, first 2 shown]
	v_fmamk_f16 v26, v45, 0xbb9c, v27
	v_fmac_f16_e32 v27, 0x3b9c, v45
	v_fmac_f16_e32 v18, 0xb8b4, v21
	v_fmac_f16_e32 v36, 0xb8b4, v20
	v_add_f16_e32 v25, v33, v35
	v_add_f16_e32 v33, v51, v52
	v_fmac_f16_e32 v19, 0x38b4, v21
	v_fmac_f16_e32 v3, 0x38b4, v20
	;; [unrolled: 1-line block ×3, first 2 shown]
	v_sub_f16_e32 v57, v14, v12
	v_add_f16_e32 v28, v48, v49
	v_add_f16_e32 v12, v13, v12
	;; [unrolled: 1-line block ×3, first 2 shown]
	v_fmac_f16_e32 v26, 0xb8b4, v47
	v_fmac_f16_e32 v27, 0x38b4, v47
	;; [unrolled: 1-line block ×3, first 2 shown]
	v_add_f16_e32 v20, v11, v17
	v_add_f16_e32 v11, v16, v46
	v_fmac_f16_e32 v18, 0x34f2, v22
	v_fmac_f16_e32 v36, 0x34f2, v23
	;; [unrolled: 1-line block ×5, first 2 shown]
	v_add_f16_e32 v21, v12, v14
	v_fmac_f16_e32 v26, 0x34f2, v28
	v_fmac_f16_e32 v27, 0x34f2, v28
	;; [unrolled: 1-line block ×3, first 2 shown]
	ds_write_b16 v7, v13
	ds_write_b16 v7, v11 offset:1540
	ds_write_b16 v7, v18 offset:308
	;; [unrolled: 1-line block ×9, first 2 shown]
	s_waitcnt lgkmcnt(0)
	s_barrier
	buffer_gl0_inv
	ds_read_u16 v15, v7 offset:1848
	ds_read_u16 v16, v7 offset:2156
	ds_read_u16 v10, v7
	ds_read_u16 v11, v7 offset:308
	ds_read_u16 v12, v7 offset:616
	;; [unrolled: 1-line block ×7, first 2 shown]
	v_sub_f16_e32 v40, v40, v46
	v_fma_f16 v34, -0.5, v54, v31
	v_fmac_f16_e32 v31, -0.5, v58
	v_add_f16_e32 v5, v5, v39
	v_fmamk_f16 v39, v29, 0x3b9c, v24
	v_fmamk_f16 v41, v32, 0xbb9c, v30
	v_fmac_f16_e32 v30, 0x3b9c, v32
	v_fmac_f16_e32 v24, 0xbb9c, v29
	v_fmamk_f16 v43, v40, 0x3b9c, v34
	v_fmac_f16_e32 v34, 0xbb9c, v40
	v_fmamk_f16 v44, v55, 0xbb9c, v31
	v_fmac_f16_e32 v31, 0x3b9c, v55
	v_fmac_f16_e32 v39, 0x38b4, v32
	;; [unrolled: 1-line block ×5, first 2 shown]
	v_add_f16_e32 v35, v56, v57
	v_fmac_f16_e32 v43, 0x38b4, v55
	v_fmac_f16_e32 v34, 0xb8b4, v55
	;; [unrolled: 1-line block ×12, first 2 shown]
	s_waitcnt lgkmcnt(0)
	s_barrier
	buffer_gl0_inv
	ds_write_b16 v7, v20
	ds_write_b16 v7, v39 offset:308
	ds_write_b16 v7, v41 offset:616
	;; [unrolled: 1-line block ×9, first 2 shown]
	s_waitcnt lgkmcnt(0)
	s_barrier
	buffer_gl0_inv
	s_and_saveexec_b32 s0, vcc_lo
	s_cbranch_execz .LBB0_25
; %bb.24:
	v_mov_b32_e32 v5, v6
	v_mov_b32_e32 v3, v6
	v_mul_hi_u32 v8, 0x551c979b, v8
	v_lshlrev_b64 v[20:21], 2, v[4:5]
	v_lshlrev_b64 v[2:3], 2, v[2:3]
	v_add_co_u32 v5, vcc_lo, s8, v20
	v_add_co_ci_u32_e32 v21, vcc_lo, s9, v21, vcc_lo
	v_add_co_u32 v24, vcc_lo, s8, v2
	v_add_co_ci_u32_e32 v25, vcc_lo, s9, v3, vcc_lo
	;; [unrolled: 2-line block ×5, first 2 shown]
	s_clause 0x4
	global_load_dword v28, v[20:21], off offset:988
	global_load_dword v29, v[22:23], off offset:788
	;; [unrolled: 1-line block ×5, first 2 shown]
	v_mul_hi_u32 v5, 0x551c979b, v9
	v_mul_hi_u32 v9, 0x551c979b, v4
	v_add_co_u32 v24, vcc_lo, s2, v0
	ds_read_u16 v33, v7 offset:2772
	ds_read_u16 v34, v7 offset:2464
	;; [unrolled: 1-line block ×9, first 2 shown]
	ds_read_u16 v42, v7
	v_add_co_ci_u32_e32 v25, vcc_lo, s3, v1, vcc_lo
	v_lshrrev_b32_e32 v5, 8, v5
	v_lshrrev_b32_e32 v7, 8, v8
	v_add_co_u32 v0, vcc_lo, v24, v2
	v_lshrrev_b32_e32 v9, 8, v9
	v_mul_u32_u24_e32 v5, 0x302, v5
	v_add_co_ci_u32_e32 v1, vcc_lo, v25, v3, vcc_lo
	v_lshlrev_b64 v[2:3], 2, v[5:6]
	v_mul_u32_u24_e32 v5, 0x302, v7
	v_add_co_u32 v7, vcc_lo, 0x800, v0
	v_add_co_ci_u32_e32 v8, vcc_lo, 0, v1, vcc_lo
	v_lshlrev_b64 v[20:21], 2, v[5:6]
	v_mad_u32_u24 v5, 0x302, v9, v4
	v_add_co_u32 v2, vcc_lo, v0, v2
	v_add_co_ci_u32_e32 v3, vcc_lo, v1, v3, vcc_lo
	v_lshlrev_b64 v[4:5], 2, v[5:6]
	v_add_co_u32 v22, vcc_lo, 0x1000, v2
	v_add_co_ci_u32_e32 v23, vcc_lo, 0, v3, vcc_lo
	v_add_co_u32 v20, vcc_lo, v0, v20
	v_add_co_ci_u32_e32 v21, vcc_lo, v1, v21, vcc_lo
	;; [unrolled: 2-line block ×5, first 2 shown]
	s_waitcnt vmcnt(4)
	v_lshrrev_b32_e32 v6, 16, v28
	s_waitcnt vmcnt(3)
	v_lshrrev_b32_e32 v43, 16, v29
	;; [unrolled: 2-line block ×5, first 2 shown]
	v_mul_f16_e32 v9, v19, v28
	v_mul_f16_e32 v50, v17, v30
	;; [unrolled: 1-line block ×9, first 2 shown]
	s_waitcnt lgkmcnt(9)
	v_fmac_f16_e32 v9, v33, v6
	v_mul_f16_e32 v6, v19, v6
	s_waitcnt lgkmcnt(5)
	v_fmac_f16_e32 v50, v37, v49
	v_fma_f16 v17, v37, v30, -v17
	v_fmac_f16_e32 v48, v36, v47
	v_fma_f16 v15, v36, v32, -v15
	;; [unrolled: 2-line block ×4, first 2 shown]
	v_fma_f16 v6, v33, v28, -v6
	v_sub_f16_e32 v31, v10, v50
	s_waitcnt lgkmcnt(0)
	v_sub_f16_e32 v17, v42, v17
	v_sub_f16_e32 v29, v11, v48
	;; [unrolled: 1-line block ×9, first 2 shown]
	v_fma_f16 v10, v10, 2.0, -v31
	v_fma_f16 v35, v42, 2.0, -v17
	;; [unrolled: 1-line block ×6, first 2 shown]
	v_pack_b32_f16 v17, v31, v17
	v_pack_b32_f16 v15, v29, v15
	v_fma_f16 v13, v13, 2.0, -v19
	v_fma_f16 v32, v39, 2.0, -v18
	;; [unrolled: 1-line block ×4, first 2 shown]
	v_pack_b32_f16 v16, v28, v16
	v_pack_b32_f16 v6, v9, v6
	;; [unrolled: 1-line block ×4, first 2 shown]
	global_store_dword v[7:8], v17, off offset:1032
	global_store_dword v[7:8], v15, off offset:1648
	v_pack_b32_f16 v7, v12, v33
	v_pack_b32_f16 v8, v13, v32
	v_pack_b32_f16 v18, v19, v18
	global_store_dword v[22:23], v16, off offset:216
	v_pack_b32_f16 v11, v14, v30
	global_store_dword v[0:1], v9, off
	global_store_dword v[0:1], v10, off offset:616
	global_store_dword v[2:3], v7, off offset:1232
	;; [unrolled: 1-line block ×4, first 2 shown]
	global_store_dword v[4:5], v11, off
	global_store_dword v[26:27], v6, off offset:1032
.LBB0_25:
	s_endpgm
	.section	.rodata,"a",@progbits
	.p2align	6, 0x0
	.amdhsa_kernel fft_rtc_back_len1540_factors_11_2_7_5_2_wgs_154_tpt_154_halfLds_half_ip_CI_unitstride_sbrr_dirReg
		.amdhsa_group_segment_fixed_size 0
		.amdhsa_private_segment_fixed_size 0
		.amdhsa_kernarg_size 88
		.amdhsa_user_sgpr_count 6
		.amdhsa_user_sgpr_private_segment_buffer 1
		.amdhsa_user_sgpr_dispatch_ptr 0
		.amdhsa_user_sgpr_queue_ptr 0
		.amdhsa_user_sgpr_kernarg_segment_ptr 1
		.amdhsa_user_sgpr_dispatch_id 0
		.amdhsa_user_sgpr_flat_scratch_init 0
		.amdhsa_user_sgpr_private_segment_size 0
		.amdhsa_wavefront_size32 1
		.amdhsa_uses_dynamic_stack 0
		.amdhsa_system_sgpr_private_segment_wavefront_offset 0
		.amdhsa_system_sgpr_workgroup_id_x 1
		.amdhsa_system_sgpr_workgroup_id_y 0
		.amdhsa_system_sgpr_workgroup_id_z 0
		.amdhsa_system_sgpr_workgroup_info 0
		.amdhsa_system_vgpr_workitem_id 0
		.amdhsa_next_free_vgpr 64
		.amdhsa_next_free_sgpr 21
		.amdhsa_reserve_vcc 1
		.amdhsa_reserve_flat_scratch 0
		.amdhsa_float_round_mode_32 0
		.amdhsa_float_round_mode_16_64 0
		.amdhsa_float_denorm_mode_32 3
		.amdhsa_float_denorm_mode_16_64 3
		.amdhsa_dx10_clamp 1
		.amdhsa_ieee_mode 1
		.amdhsa_fp16_overflow 0
		.amdhsa_workgroup_processor_mode 1
		.amdhsa_memory_ordered 1
		.amdhsa_forward_progress 0
		.amdhsa_shared_vgpr_count 0
		.amdhsa_exception_fp_ieee_invalid_op 0
		.amdhsa_exception_fp_denorm_src 0
		.amdhsa_exception_fp_ieee_div_zero 0
		.amdhsa_exception_fp_ieee_overflow 0
		.amdhsa_exception_fp_ieee_underflow 0
		.amdhsa_exception_fp_ieee_inexact 0
		.amdhsa_exception_int_div_zero 0
	.end_amdhsa_kernel
	.text
.Lfunc_end0:
	.size	fft_rtc_back_len1540_factors_11_2_7_5_2_wgs_154_tpt_154_halfLds_half_ip_CI_unitstride_sbrr_dirReg, .Lfunc_end0-fft_rtc_back_len1540_factors_11_2_7_5_2_wgs_154_tpt_154_halfLds_half_ip_CI_unitstride_sbrr_dirReg
                                        ; -- End function
	.section	.AMDGPU.csdata,"",@progbits
; Kernel info:
; codeLenInByte = 9076
; NumSgprs: 23
; NumVgprs: 64
; ScratchSize: 0
; MemoryBound: 0
; FloatMode: 240
; IeeeMode: 1
; LDSByteSize: 0 bytes/workgroup (compile time only)
; SGPRBlocks: 2
; VGPRBlocks: 7
; NumSGPRsForWavesPerEU: 23
; NumVGPRsForWavesPerEU: 64
; Occupancy: 15
; WaveLimiterHint : 1
; COMPUTE_PGM_RSRC2:SCRATCH_EN: 0
; COMPUTE_PGM_RSRC2:USER_SGPR: 6
; COMPUTE_PGM_RSRC2:TRAP_HANDLER: 0
; COMPUTE_PGM_RSRC2:TGID_X_EN: 1
; COMPUTE_PGM_RSRC2:TGID_Y_EN: 0
; COMPUTE_PGM_RSRC2:TGID_Z_EN: 0
; COMPUTE_PGM_RSRC2:TIDIG_COMP_CNT: 0
	.text
	.p2alignl 6, 3214868480
	.fill 48, 4, 3214868480
	.type	__hip_cuid_cffb8aeb3e6b064,@object ; @__hip_cuid_cffb8aeb3e6b064
	.section	.bss,"aw",@nobits
	.globl	__hip_cuid_cffb8aeb3e6b064
__hip_cuid_cffb8aeb3e6b064:
	.byte	0                               ; 0x0
	.size	__hip_cuid_cffb8aeb3e6b064, 1

	.ident	"AMD clang version 19.0.0git (https://github.com/RadeonOpenCompute/llvm-project roc-6.4.0 25133 c7fe45cf4b819c5991fe208aaa96edf142730f1d)"
	.section	".note.GNU-stack","",@progbits
	.addrsig
	.addrsig_sym __hip_cuid_cffb8aeb3e6b064
	.amdgpu_metadata
---
amdhsa.kernels:
  - .args:
      - .actual_access:  read_only
        .address_space:  global
        .offset:         0
        .size:           8
        .value_kind:     global_buffer
      - .offset:         8
        .size:           8
        .value_kind:     by_value
      - .actual_access:  read_only
        .address_space:  global
        .offset:         16
        .size:           8
        .value_kind:     global_buffer
      - .actual_access:  read_only
        .address_space:  global
        .offset:         24
        .size:           8
        .value_kind:     global_buffer
      - .offset:         32
        .size:           8
        .value_kind:     by_value
      - .actual_access:  read_only
        .address_space:  global
        .offset:         40
        .size:           8
        .value_kind:     global_buffer
      - .actual_access:  read_only
        .address_space:  global
        .offset:         48
        .size:           8
        .value_kind:     global_buffer
      - .offset:         56
        .size:           4
        .value_kind:     by_value
      - .actual_access:  read_only
        .address_space:  global
        .offset:         64
        .size:           8
        .value_kind:     global_buffer
      - .actual_access:  read_only
        .address_space:  global
        .offset:         72
        .size:           8
        .value_kind:     global_buffer
      - .address_space:  global
        .offset:         80
        .size:           8
        .value_kind:     global_buffer
    .group_segment_fixed_size: 0
    .kernarg_segment_align: 8
    .kernarg_segment_size: 88
    .language:       OpenCL C
    .language_version:
      - 2
      - 0
    .max_flat_workgroup_size: 154
    .name:           fft_rtc_back_len1540_factors_11_2_7_5_2_wgs_154_tpt_154_halfLds_half_ip_CI_unitstride_sbrr_dirReg
    .private_segment_fixed_size: 0
    .sgpr_count:     23
    .sgpr_spill_count: 0
    .symbol:         fft_rtc_back_len1540_factors_11_2_7_5_2_wgs_154_tpt_154_halfLds_half_ip_CI_unitstride_sbrr_dirReg.kd
    .uniform_work_group_size: 1
    .uses_dynamic_stack: false
    .vgpr_count:     64
    .vgpr_spill_count: 0
    .wavefront_size: 32
    .workgroup_processor_mode: 1
amdhsa.target:   amdgcn-amd-amdhsa--gfx1030
amdhsa.version:
  - 1
  - 2
...

	.end_amdgpu_metadata
